;; amdgpu-corpus repo=ROCm/rocFFT kind=compiled arch=gfx906 opt=O3
	.text
	.amdgcn_target "amdgcn-amd-amdhsa--gfx906"
	.amdhsa_code_object_version 6
	.protected	fft_rtc_back_len96_factors_4_2_3_4_wgs_192_tpt_8_dim2_sp_ip_CI_sbcc_twdbase8_3step_dirReg_intrinsicReadWrite ; -- Begin function fft_rtc_back_len96_factors_4_2_3_4_wgs_192_tpt_8_dim2_sp_ip_CI_sbcc_twdbase8_3step_dirReg_intrinsicReadWrite
	.globl	fft_rtc_back_len96_factors_4_2_3_4_wgs_192_tpt_8_dim2_sp_ip_CI_sbcc_twdbase8_3step_dirReg_intrinsicReadWrite
	.p2align	8
	.type	fft_rtc_back_len96_factors_4_2_3_4_wgs_192_tpt_8_dim2_sp_ip_CI_sbcc_twdbase8_3step_dirReg_intrinsicReadWrite,@function
fft_rtc_back_len96_factors_4_2_3_4_wgs_192_tpt_8_dim2_sp_ip_CI_sbcc_twdbase8_3step_dirReg_intrinsicReadWrite: ; @fft_rtc_back_len96_factors_4_2_3_4_wgs_192_tpt_8_dim2_sp_ip_CI_sbcc_twdbase8_3step_dirReg_intrinsicReadWrite
; %bb.0:
	s_load_dwordx4 s[0:3], s[4:5], 0x10
	s_mov_b32 s7, 0
	s_waitcnt lgkmcnt(0)
	s_load_dwordx2 s[10:11], s[0:1], 0x8
	s_load_dwordx2 s[14:15], s[4:5], 0x0
	;; [unrolled: 1-line block ×4, first 2 shown]
	s_waitcnt lgkmcnt(0)
	s_add_u32 s0, s10, -1
	s_addc_u32 s1, s11, -1
	s_add_u32 s13, 0, 0xaaaa0000
	s_addc_u32 s16, 0, 42
	s_add_i32 s16, s16, 0xaaaaa80
	s_mul_hi_u32 s20, s13, 0xffffffe8
	s_sub_i32 s20, s20, s13
	s_mul_i32 s21, s16, 0xffffffe8
	s_mul_i32 s17, s13, 0xffffffe8
	s_add_i32 s20, s20, s21
	s_mul_hi_u32 s18, s16, s17
	s_mul_i32 s19, s16, s17
	s_mul_i32 s22, s13, s20
	s_mul_hi_u32 s17, s13, s17
	s_mul_hi_u32 s21, s13, s20
	s_add_u32 s17, s17, s22
	s_addc_u32 s21, 0, s21
	s_add_u32 s17, s17, s19
	s_mul_hi_u32 s22, s16, s20
	s_addc_u32 s17, s21, s18
	s_addc_u32 s18, s22, 0
	s_mul_i32 s19, s16, s20
	s_add_u32 s17, s17, s19
	v_mov_b32_e32 v1, s17
	s_addc_u32 s18, 0, s18
	v_add_co_u32_e32 v1, vcc, s13, v1
	s_cmp_lg_u64 vcc, 0
	s_addc_u32 s13, s16, s18
	v_readfirstlane_b32 s18, v1
	s_mul_i32 s17, s0, s13
	s_mul_hi_u32 s19, s0, s18
	s_mul_hi_u32 s16, s0, s13
	s_add_u32 s17, s19, s17
	s_addc_u32 s16, 0, s16
	s_mul_hi_u32 s20, s1, s18
	s_mul_i32 s18, s1, s18
	s_add_u32 s17, s17, s18
	s_mul_hi_u32 s19, s1, s13
	s_addc_u32 s16, s16, s20
	s_addc_u32 s17, s19, 0
	s_mul_i32 s13, s1, s13
	s_add_u32 s13, s16, s13
	s_addc_u32 s16, 0, s17
	s_add_u32 s17, s13, 1
	s_addc_u32 s18, s16, 0
	s_add_u32 s19, s13, 2
	s_mul_i32 s21, s16, 24
	s_mul_hi_u32 s22, s13, 24
	s_addc_u32 s20, s16, 0
	s_add_i32 s22, s22, s21
	s_mul_i32 s21, s13, 24
	v_mov_b32_e32 v1, s21
	v_sub_co_u32_e32 v1, vcc, s0, v1
	s_cmp_lg_u64 vcc, 0
	s_subb_u32 s0, s1, s22
	v_subrev_co_u32_e32 v2, vcc, 24, v1
	s_cmp_lg_u64 vcc, 0
	s_subb_u32 s1, s0, 0
	v_readfirstlane_b32 s21, v2
	s_cmp_gt_u32 s21, 23
	s_cselect_b32 s21, -1, 0
	s_cmp_eq_u32 s1, 0
	s_cselect_b32 s1, s21, -1
	s_cmp_lg_u32 s1, 0
	s_cselect_b32 s1, s19, s17
	s_cselect_b32 s17, s20, s18
	v_readfirstlane_b32 s18, v1
	s_cmp_gt_u32 s18, 23
	s_cselect_b32 s18, -1, 0
	s_cmp_eq_u32 s0, 0
	s_cselect_b32 s0, s18, -1
	s_cmp_lg_u32 s0, 0
	s_cselect_b32 s0, s1, s13
	s_cselect_b32 s16, s17, s16
	s_add_u32 s0, s0, 1
	s_addc_u32 s1, s16, 0
	v_mov_b32_e32 v2, s1
	v_mov_b32_e32 v1, s0
	v_cmp_lt_u64_e32 vcc, s[6:7], v[1:2]
	s_mov_b64 s[16:17], 0
	s_cbranch_vccnz .LBB0_2
; %bb.1:
	v_cvt_f32_u32_e32 v1, s0
	s_sub_i32 s7, 0, s0
	v_rcp_iflag_f32_e32 v1, v1
	v_mul_f32_e32 v1, 0x4f7ffffe, v1
	v_cvt_u32_f32_e32 v1, v1
	v_readfirstlane_b32 s13, v1
	s_mul_i32 s7, s7, s13
	s_mul_hi_u32 s7, s13, s7
	s_add_i32 s13, s13, s7
	s_mul_hi_u32 s7, s6, s13
	s_mul_i32 s16, s7, s0
	s_sub_i32 s16, s6, s16
	s_add_i32 s13, s7, 1
	s_sub_i32 s17, s16, s0
	s_cmp_ge_u32 s16, s0
	s_cselect_b32 s7, s13, s7
	s_cselect_b32 s16, s17, s16
	s_add_i32 s13, s7, 1
	s_cmp_ge_u32 s16, s0
	s_cselect_b32 s16, s13, s7
.LBB0_2:
	s_mul_i32 s1, s16, s1
	s_mul_hi_u32 s7, s16, s0
	s_add_i32 s7, s7, s1
	s_mul_i32 s0, s16, s0
	s_sub_u32 s6, s6, s0
	s_load_dwordx4 s[0:3], s[2:3], 0x8
	v_mul_u32_u24_e32 v5, 0xaab, v0
	s_subb_u32 s7, 0, s7
	v_lshrrev_b32_e32 v3, 16, v5
	s_mul_i32 s7, s7, 24
	s_waitcnt lgkmcnt(0)
	s_mul_hi_u32 s1, s6, 24
	s_mul_i32 s3, s6, 24
	v_mul_lo_u16_e32 v1, 24, v3
	s_add_i32 s1, s1, s7
	s_mul_i32 s6, s3, s0
	s_mul_i32 s2, s2, s16
	v_sub_u16_e32 v4, v0, v1
	s_add_i32 s6, s2, s6
	v_mov_b32_e32 v2, s1
	v_add_co_u32_e32 v1, vcc, s3, v4
	v_addc_co_u32_e32 v2, vcc, 0, v2, vcc
	s_add_u32 s2, s3, 24
	v_mov_b32_e32 v6, s10
	s_addc_u32 s3, s1, 0
	v_mul_lo_u32 v16, s0, v4
	v_mul_lo_u32 v8, s12, v3
	v_mov_b32_e32 v7, s11
	v_cmp_gt_u64_e64 s[0:1], s[10:11], v[1:2]
	v_add_u32_e32 v2, 24, v3
	v_cmp_le_u64_e32 vcc, s[2:3], v[6:7]
	v_mul_lo_u32 v7, s12, v2
	v_add_lshl_u32 v6, v16, v8, 3
	s_or_b64 vcc, vcc, s[0:1]
	v_cndmask_b32_e32 v8, -1, v6, vcc
	v_add_lshl_u32 v6, v16, v7, 3
	v_or_b32_e32 v7, 48, v3
	v_mul_lo_u32 v7, s12, v7
	v_add_u32_e32 v9, 0x48, v3
	v_mul_lo_u32 v9, s12, v9
	v_cndmask_b32_e32 v10, -1, v6, vcc
	v_add_lshl_u32 v6, v16, v7, 3
	v_cndmask_b32_e32 v15, -1, v6, vcc
	v_add_lshl_u32 v6, v16, v9, 3
	s_lshl_b32 s2, s6, 3
	s_mov_b32 s11, 0x20000
	s_mov_b32 s10, -2
	v_cndmask_b32_e32 v17, -1, v6, vcc
	buffer_load_dwordx2 v[6:7], v8, s[8:11], s2 offen
	buffer_load_dwordx2 v[11:12], v10, s[8:11], s2 offen
	;; [unrolled: 1-line block ×4, first 2 shown]
	v_or_b32_e32 v17, 0x50, v3
	v_mul_lo_u32 v17, s12, v17
	v_add_u32_e32 v18, 8, v3
	v_mul_lo_u32 v21, s12, v18
	v_or_b32_e32 v9, 32, v3
	v_add_u32_e32 v15, 56, v3
	v_mul_lo_u32 v22, s12, v9
	v_mul_lo_u32 v15, s12, v15
	v_add_lshl_u32 v27, v16, v17, 3
	v_or_b32_e32 v17, 16, v3
	v_mul_lo_u32 v29, s12, v17
	v_add_lshl_u32 v8, v16, v21, 3
	v_cndmask_b32_e32 v8, -1, v8, vcc
	v_add_lshl_u32 v10, v16, v22, 3
	v_add_lshl_u32 v15, v16, v15, 3
	v_cndmask_b32_e32 v10, -1, v10, vcc
	v_cndmask_b32_e32 v15, -1, v15, vcc
	buffer_load_dwordx2 v[21:22], v8, s[8:11], s2 offen
	buffer_load_dwordx2 v[23:24], v10, s[8:11], s2 offen
	;; [unrolled: 1-line block ×3, first 2 shown]
	v_cndmask_b32_e32 v8, -1, v27, vcc
	buffer_load_dwordx2 v[27:28], v8, s[8:11], s2 offen
	v_add_lshl_u32 v8, v16, v29, 3
	v_or_b32_e32 v29, 64, v3
	v_mul_lo_u32 v29, s12, v29
	v_add_u32_e32 v10, 40, v3
	v_mul_lo_u32 v15, s12, v10
	v_cndmask_b32_e32 v8, -1, v8, vcc
	v_add_lshl_u32 v29, v16, v29, 3
	v_cndmask_b32_e32 v35, -1, v29, vcc
	v_add_u32_e32 v29, 0x58, v3
	v_mul_lo_u32 v36, s12, v29
	v_add_lshl_u32 v15, v16, v15, 3
	v_cndmask_b32_e32 v15, -1, v15, vcc
	buffer_load_dwordx2 v[29:30], v35, s[8:11], s2 offen
	buffer_load_dwordx2 v[31:32], v8, s[8:11], s2 offen
	;; [unrolled: 1-line block ×3, first 2 shown]
	v_add_lshl_u32 v8, v16, v36, 3
	v_cndmask_b32_e32 v8, -1, v8, vcc
	buffer_load_dwordx2 v[35:36], v8, s[8:11], s2 offen
	s_movk_i32 s6, 0xfdc0
	s_movk_i32 s1, 0x1800
	s_movk_i32 s3, 0x3000
	s_movk_i32 s0, 0x58
	v_lshlrev_b32_e32 v9, 1, v9
	s_waitcnt vmcnt(9)
	v_sub_f32_e32 v8, v6, v13
	v_sub_f32_e32 v15, v7, v14
	s_waitcnt vmcnt(8)
	v_sub_f32_e32 v37, v11, v19
	v_sub_f32_e32 v19, v12, v20
	v_fma_f32 v6, v6, 2.0, -v8
	v_fma_f32 v7, v7, 2.0, -v15
	;; [unrolled: 1-line block ×4, first 2 shown]
	v_sub_f32_e32 v11, v6, v11
	v_sub_f32_e32 v12, v7, v12
	v_fma_f32 v13, v6, 2.0, -v11
	v_fma_f32 v14, v7, 2.0, -v12
	v_sub_f32_e32 v20, v15, v37
	v_add_f32_e32 v19, v8, v19
	v_fma_f32 v38, v15, 2.0, -v20
	v_fma_f32 v37, v8, 2.0, -v19
	s_waitcnt vmcnt(5)
	v_sub_f32_e32 v6, v21, v25
	v_sub_f32_e32 v7, v22, v26
	s_waitcnt vmcnt(4)
	v_sub_f32_e32 v25, v24, v28
	v_fma_f32 v15, v22, 2.0, -v7
	v_sub_f32_e32 v26, v23, v27
	v_fma_f32 v22, v24, 2.0, -v25
	v_add_f32_e32 v25, v6, v25
	v_fma_f32 v8, v21, 2.0, -v6
	v_fma_f32 v21, v23, 2.0, -v26
	v_sub_f32_e32 v26, v7, v26
	v_fma_f32 v27, v6, 2.0, -v25
	v_sub_f32_e32 v21, v8, v21
	;; [unrolled: 2-line block ×3, first 2 shown]
	s_waitcnt vmcnt(2)
	v_sub_f32_e32 v6, v31, v29
	v_sub_f32_e32 v7, v32, v30
	v_fma_f32 v23, v8, 2.0, -v21
	v_fma_f32 v8, v31, 2.0, -v6
	s_waitcnt vmcnt(0)
	v_sub_f32_e32 v35, v33, v35
	v_sub_f32_e32 v36, v34, v36
	v_fma_f32 v29, v33, 2.0, -v35
	v_add_f32_e32 v33, v6, v36
	v_fma_f32 v30, v34, 2.0, -v36
	v_sub_f32_e32 v34, v7, v35
	v_fma_f32 v35, v6, 2.0, -v33
	v_mul_u32_u24_e32 v6, 0x60, v3
	v_fma_f32 v24, v15, 2.0, -v22
	v_fma_f32 v15, v32, 2.0, -v7
	;; [unrolled: 1-line block ×3, first 2 shown]
	v_lshlrev_b32_e32 v6, 3, v6
	v_lshlrev_b32_e32 v7, 3, v4
	v_add3_u32 v6, 0, v6, v7
	v_sub_f32_e32 v29, v8, v29
	v_sub_f32_e32 v30, v15, v30
	v_add_u32_e32 v4, 0x1800, v6
	v_fma_f32 v31, v8, 2.0, -v29
	v_fma_f32 v32, v15, 2.0, -v30
	ds_write2_b64 v6, v[13:14], v[37:38] offset1:24
	ds_write2_b64 v6, v[11:12], v[19:20] offset0:48 offset1:72
	ds_write2_b64 v4, v[23:24], v[27:28] offset1:24
	ds_write2_b64 v4, v[21:22], v[25:26] offset0:48 offset1:72
	v_add_u32_e32 v4, 0x3000, v6
	v_bfe_u32 v15, v5, 16, 2
	ds_write2_b64 v4, v[31:32], v[35:36] offset1:24
	ds_write2_b64 v4, v[29:30], v[33:34] offset0:48 offset1:72
	v_lshlrev_b32_e32 v4, 3, v15
	s_waitcnt lgkmcnt(0)
	s_barrier
	global_load_dwordx2 v[27:28], v4, s[14:15]
	v_mad_i32_i24 v4, v3, s6, v6
	ds_read2st64_b64 v[11:14], v4 offset1:18
	ds_read2st64_b64 v[19:22], v4 offset0:21 offset1:24
	v_mul_i32_i24_e32 v8, 0xfffffdc0, v18
	v_mul_i32_i24_e32 v23, 0xfffffdc0, v17
	v_add3_u32 v8, v6, s1, v8
	v_add3_u32 v6, v6, s3, v23
	ds_read_b64 v[29:30], v6
	ds_read_b32 v41, v6 offset:1536
	ds_read_b32 v42, v6 offset:3072
	ds_read_b64 v[31:32], v6 offset:3072
	ds_read_b32 v43, v6 offset:1540
	ds_read_b64 v[33:34], v6 offset:1536
	ds_read2st64_b64 v[23:26], v4 offset0:27 offset1:30
	ds_read_b32 v44, v6 offset:3076
	ds_read_b32 v45, v6 offset:4608
	;; [unrolled: 1-line block ×3, first 2 shown]
	ds_read_b64 v[35:36], v6 offset:4608
	ds_read_b64 v[37:38], v8
	ds_read_b64 v[39:40], v4 offset:16896
	s_waitcnt vmcnt(0) lgkmcnt(0)
	s_barrier
	s_movk_i32 s1, 0x78
	v_and_or_b32 v9, v9, s0, v15
	v_mul_u32_u24_e32 v9, 0xc0, v9
	v_add3_u32 v9, 0, v9, v7
	s_movk_i32 s0, 0x240
	s_movk_i32 s3, 0x48
	v_mul_f32_e32 v47, v28, v14
	v_fmac_f32_e32 v47, v27, v13
	v_mul_f32_e32 v13, v28, v13
	v_fma_f32 v14, v27, v14, -v13
	v_mul_f32_e32 v13, v28, v19
	v_mul_f32_e32 v48, v28, v20
	v_fma_f32 v20, v27, v20, -v13
	v_mul_f32_e32 v13, v28, v21
	v_fma_f32 v50, v27, v22, -v13
	v_mul_f32_e32 v13, v28, v23
	v_fma_f32 v52, v27, v24, -v13
	v_mul_f32_e32 v13, v28, v25
	v_fma_f32 v54, v27, v26, -v13
	v_mul_f32_e32 v55, v28, v40
	v_mul_f32_e32 v13, v28, v39
	v_fmac_f32_e32 v55, v27, v39
	v_fma_f32 v39, v27, v40, -v13
	v_sub_f32_e32 v36, v36, v39
	v_lshrrev_b32_e32 v39, 15, v5
	v_and_or_b32 v39, v39, 24, v15
	v_sub_f32_e32 v13, v11, v47
	v_sub_f32_e32 v14, v12, v14
	v_mul_u32_u24_e32 v39, 0xc0, v39
	v_fma_f32 v11, v11, 2.0, -v13
	v_fma_f32 v12, v12, 2.0, -v14
	v_add3_u32 v39, 0, v39, v7
	ds_write2_b64 v39, v[11:12], v[13:14] offset1:96
	v_lshlrev_b32_e32 v11, 1, v18
	v_fmac_f32_e32 v48, v27, v19
	v_and_or_b32 v11, v11, 56, v15
	v_mul_f32_e32 v49, v28, v22
	v_sub_f32_e32 v19, v37, v48
	v_sub_f32_e32 v20, v38, v20
	v_mul_u32_u24_e32 v11, 0xc0, v11
	v_fmac_f32_e32 v49, v27, v21
	v_fma_f32 v21, v37, 2.0, -v19
	v_fma_f32 v22, v38, 2.0, -v20
	v_add3_u32 v11, 0, v11, v7
	ds_write2_b64 v11, v[21:22], v[19:20] offset1:96
	v_lshlrev_b32_e32 v11, 1, v17
	v_mul_f32_e32 v51, v28, v24
	v_and_or_b32 v11, v11, 56, v15
	v_fmac_f32_e32 v51, v27, v23
	v_mul_f32_e32 v53, v28, v26
	v_sub_f32_e32 v23, v29, v49
	v_sub_f32_e32 v24, v30, v50
	v_mul_u32_u24_e32 v11, 0xc0, v11
	v_fmac_f32_e32 v53, v27, v25
	v_fma_f32 v25, v29, 2.0, -v23
	v_fma_f32 v26, v30, 2.0, -v24
	v_add3_u32 v11, 0, v11, v7
	ds_write2_b64 v11, v[25:26], v[23:24] offset1:96
	v_lshlrev_b32_e32 v11, 1, v2
	v_and_or_b32 v11, v11, s1, v15
	v_sub_f32_e32 v27, v33, v51
	v_sub_f32_e32 v28, v34, v52
	;; [unrolled: 1-line block ×4, first 2 shown]
	v_mul_u32_u24_e32 v11, 0xc0, v11
	v_fma_f32 v29, v41, 2.0, -v27
	v_fma_f32 v30, v43, 2.0, -v28
	v_fma_f32 v33, v42, 2.0, -v31
	v_fma_f32 v34, v44, 2.0, -v32
	v_add3_u32 v11, 0, v11, v7
	ds_write2_b64 v11, v[29:30], v[27:28] offset1:96
	ds_write2_b64 v9, v[33:34], v[31:32] offset1:96
	v_lshlrev_b32_e32 v9, 1, v10
	v_and_or_b32 v9, v9, s1, v15
	v_sub_f32_e32 v35, v35, v55
	v_mul_u32_u24_e32 v9, 0xc0, v9
	v_fma_f32 v37, v45, 2.0, -v35
	v_fma_f32 v38, v46, 2.0, -v36
	v_add3_u32 v9, 0, v9, v7
	v_bfe_u32 v41, v5, 16, 3
	ds_write2_b64 v9, v[37:38], v[35:36] offset1:96
	v_lshlrev_b32_e32 v9, 4, v41
	s_waitcnt lgkmcnt(0)
	s_barrier
	global_load_dwordx4 v[9:12], v9, s[14:15] offset:32
	ds_read2st64_b64 v[19:22], v4 offset1:15
	ds_read2st64_b64 v[23:26], v4 offset0:24 offset1:27
	ds_read_b64 v[14:15], v8
	ds_read_b64 v[35:36], v6 offset:3072
	ds_read_b64 v[37:38], v6
	ds_read2st64_b64 v[27:30], v4 offset0:18 offset1:21
	ds_read2st64_b64 v[31:34], v4 offset0:30 offset1:33
	v_lshrrev_b32_e32 v5, 19, v5
	v_mul_u32_u24_e32 v5, 24, v5
	v_add_u32_e32 v39, 0x400, v6
	v_or_b32_e32 v5, v5, v41
	ds_read2_b32 v[39:40], v39 offset0:128 offset1:129
	v_mul_u32_u24_e32 v5, 0xc0, v5
	v_add3_u32 v5, 0, v5, v7
	s_waitcnt vmcnt(0) lgkmcnt(0)
	s_barrier
	v_lshrrev_b32_e32 v2, 3, v2
	v_mul_u32_u24_e32 v2, 24, v2
	v_or_b32_e32 v2, v2, v41
	v_mul_u32_u24_e32 v2, 0xc0, v2
	v_add3_u32 v2, 0, v2, v7
	v_cmp_gt_u32_e64 s[0:1], s0, v0
	v_mov_b32_e32 v13, 0
	v_mul_f32_e32 v42, v10, v36
	v_fmac_f32_e32 v42, v9, v35
	v_mul_f32_e32 v35, v10, v35
	v_fma_f32 v35, v9, v36, -v35
	v_mul_f32_e32 v36, v12, v24
	v_fmac_f32_e32 v36, v11, v23
	v_mul_f32_e32 v23, v12, v23
	v_fma_f32 v23, v11, v24, -v23
	;; [unrolled: 4-line block ×3, first 2 shown]
	v_mul_f32_e32 v44, v12, v26
	v_mul_f32_e32 v21, v12, v25
	v_fmac_f32_e32 v44, v11, v25
	v_fma_f32 v25, v11, v26, -v21
	v_mul_f32_e32 v21, v10, v27
	v_mul_f32_e32 v45, v10, v28
	v_fma_f32 v28, v9, v28, -v21
	v_mul_f32_e32 v46, v12, v32
	v_mul_f32_e32 v21, v12, v31
	v_fmac_f32_e32 v46, v11, v31
	v_fma_f32 v31, v11, v32, -v21
	v_mul_f32_e32 v32, v10, v30
	v_mul_f32_e32 v10, v10, v29
	v_fmac_f32_e32 v45, v9, v27
	v_fmac_f32_e32 v32, v9, v29
	v_fma_f32 v47, v9, v30, -v10
	v_mul_f32_e32 v48, v34, v12
	v_mul_f32_e32 v9, v33, v12
	v_add_f32_e32 v10, v42, v36
	v_fmac_f32_e32 v48, v33, v11
	v_fma_f32 v33, v34, v11, -v9
	v_fma_f32 v11, -0.5, v10, v19
	v_add_f32_e32 v12, v35, v23
	v_add_f32_e32 v9, v19, v42
	v_sub_f32_e32 v10, v35, v23
	v_mov_b32_e32 v19, v11
	v_fma_f32 v12, -0.5, v12, v20
	v_fmac_f32_e32 v19, 0xbf5db3d7, v10
	v_fmac_f32_e32 v11, 0x3f5db3d7, v10
	v_add_f32_e32 v10, v20, v35
	v_sub_f32_e32 v21, v42, v36
	v_mov_b32_e32 v20, v12
	v_add_f32_e32 v22, v24, v44
	v_fmac_f32_e32 v20, 0x3f5db3d7, v21
	v_fmac_f32_e32 v12, 0xbf5db3d7, v21
	v_add_f32_e32 v21, v14, v24
	v_fma_f32 v14, -0.5, v22, v14
	v_add_f32_e32 v10, v10, v23
	v_sub_f32_e32 v22, v43, v25
	v_mov_b32_e32 v23, v14
	v_fmac_f32_e32 v23, 0xbf5db3d7, v22
	v_fmac_f32_e32 v14, 0x3f5db3d7, v22
	v_add_f32_e32 v22, v15, v43
	v_add_f32_e32 v22, v22, v25
	;; [unrolled: 1-line block ×3, first 2 shown]
	v_fmac_f32_e32 v15, -0.5, v25
	v_sub_f32_e32 v25, v24, v44
	v_mov_b32_e32 v24, v15
	v_add_f32_e32 v26, v45, v46
	v_fmac_f32_e32 v24, 0x3f5db3d7, v25
	v_fmac_f32_e32 v15, 0xbf5db3d7, v25
	v_add_f32_e32 v25, v37, v45
	v_fma_f32 v37, -0.5, v26, v37
	v_add_f32_e32 v9, v9, v36
	v_sub_f32_e32 v26, v28, v31
	v_mov_b32_e32 v27, v37
	v_fmac_f32_e32 v27, 0xbf5db3d7, v26
	v_fmac_f32_e32 v37, 0x3f5db3d7, v26
	v_add_f32_e32 v26, v38, v28
	v_add_f32_e32 v28, v28, v31
	ds_write2st64_b64 v5, v[9:10], v[19:20] offset1:3
	ds_write_b64 v5, v[11:12] offset:3072
	v_lshrrev_b32_e32 v5, 3, v18
	v_fmac_f32_e32 v38, -0.5, v28
	v_mul_u32_u24_e32 v5, 24, v5
	v_sub_f32_e32 v29, v45, v46
	v_mov_b32_e32 v28, v38
	v_add_f32_e32 v30, v32, v48
	v_or_b32_e32 v5, v5, v41
	v_fmac_f32_e32 v28, 0x3f5db3d7, v29
	v_fmac_f32_e32 v38, 0xbf5db3d7, v29
	v_add_f32_e32 v29, v39, v32
	v_fma_f32 v39, -0.5, v30, v39
	v_mul_u32_u24_e32 v5, 0xc0, v5
	v_add_f32_e32 v21, v21, v44
	v_add_f32_e32 v26, v26, v31
	v_sub_f32_e32 v30, v47, v33
	v_mov_b32_e32 v31, v39
	v_add3_u32 v5, 0, v5, v7
	v_fmac_f32_e32 v31, 0xbf5db3d7, v30
	v_fmac_f32_e32 v39, 0x3f5db3d7, v30
	v_add_f32_e32 v30, v40, v47
	ds_write2st64_b64 v5, v[21:22], v[23:24] offset1:3
	ds_write_b64 v5, v[14:15] offset:3072
	v_lshrrev_b32_e32 v5, 3, v17
	v_add_f32_e32 v30, v30, v33
	v_add_f32_e32 v33, v47, v33
	v_mul_u32_u24_e32 v5, 24, v5
	v_fmac_f32_e32 v40, -0.5, v33
	v_or_b32_e32 v5, v5, v41
	v_sub_f32_e32 v33, v32, v48
	v_mov_b32_e32 v32, v40
	v_mul_u32_u24_e32 v5, 0xc0, v5
	v_add_f32_e32 v25, v25, v46
	v_add_f32_e32 v29, v29, v48
	v_fmac_f32_e32 v32, 0x3f5db3d7, v33
	v_add3_u32 v5, 0, v5, v7
	v_fmac_f32_e32 v40, 0xbf5db3d7, v33
	ds_write2st64_b64 v5, v[25:26], v[27:28] offset1:3
	ds_write_b64 v5, v[37:38] offset:3072
	ds_write2st64_b64 v2, v[29:30], v[31:32] offset1:3
	ds_write_b64 v2, v[39:40] offset:3072
	v_subrev_u32_e32 v2, 24, v3
	v_cndmask_b32_e64 v21, v2, v3, s[0:1]
	v_mul_i32_i24_e32 v12, 3, v21
	v_lshlrev_b64 v[2:3], 3, v[12:13]
	v_mov_b32_e32 v5, s15
	v_add_co_u32_e64 v2, s[0:1], s14, v2
	v_addc_co_u32_e64 v3, s[0:1], v5, v3, s[0:1]
	s_waitcnt lgkmcnt(0)
	s_barrier
	global_load_dwordx4 v[10:13], v[2:3], off offset:160
	v_mul_lo_u16_e32 v5, 43, v18
	v_mul_lo_u16_e32 v7, 43, v17
	v_lshrrev_b16_e32 v20, 10, v5
	v_lshrrev_b16_e32 v19, 10, v7
	v_mul_lo_u16_e32 v5, 24, v20
	v_mul_lo_u16_e32 v7, 24, v19
	v_sub_u16_e32 v5, v18, v5
	v_sub_u16_e32 v7, v17, v7
	v_and_b32_e32 v9, 0xff, v5
	v_and_b32_e32 v22, 0xff, v7
	v_mul_u32_u24_e32 v5, 3, v9
	v_mul_u32_u24_e32 v7, 3, v22
	v_lshlrev_b32_e32 v5, 3, v5
	v_lshlrev_b32_e32 v7, 3, v7
	global_load_dwordx4 v[29:32], v5, s[14:15] offset:160
	global_load_dwordx4 v[24:27], v7, s[14:15] offset:160
	global_load_dwordx2 v[49:50], v[2:3], off offset:176
	global_load_dwordx2 v[51:52], v5, s[14:15] offset:176
	global_load_dwordx2 v[53:54], v7, s[14:15] offset:176
	v_mul_lo_u32 v5, v1, v21
	s_load_dwordx2 s[0:1], s[4:5], 0x8
	v_mov_b32_e32 v28, 3
	v_lshlrev_b32_sdwa v7, v28, v5 dst_sel:DWORD dst_unused:UNUSED_PAD src0_sel:DWORD src1_sel:BYTE_0
	v_lshlrev_b32_sdwa v14, v28, v5 dst_sel:DWORD dst_unused:UNUSED_PAD src0_sel:DWORD src1_sel:BYTE_1
	s_waitcnt lgkmcnt(0)
	global_load_dwordx2 v[2:3], v7, s[0:1]
	global_load_dwordx2 v[55:56], v14, s[0:1] offset:2048
	ds_read2st64_b64 v[33:36], v6 offset1:3
	ds_read2st64_b64 v[37:40], v4 offset1:12
	ds_read2st64_b64 v[41:44], v4 offset0:15 offset1:18
	ds_read2st64_b64 v[45:48], v4 offset0:27 offset1:30
	v_bfe_u32 v5, v5, 16, 8
	s_waitcnt vmcnt(7) lgkmcnt(3)
	v_mul_f32_e32 v6, v11, v35
	v_fma_f32 v15, v10, v36, -v6
	s_waitcnt lgkmcnt(1)
	v_mul_f32_e32 v57, v13, v44
	v_mul_f32_e32 v6, v13, v43
	;; [unrolled: 1-line block ×3, first 2 shown]
	v_fmac_f32_e32 v57, v12, v43
	v_fma_f32 v43, v12, v44, -v6
	ds_read2st64_b64 v[11:14], v4 offset0:21 offset1:24
	v_fmac_f32_e32 v7, v10, v35
	s_waitcnt vmcnt(5)
	v_mul_f32_e32 v23, v42, v25
	v_mul_f32_e32 v6, v41, v25
	v_fmac_f32_e32 v23, v41, v24
	v_fma_f32 v24, v42, v24, -v6
	s_waitcnt lgkmcnt(0)
	v_mul_f32_e32 v6, v13, v27
	v_mov_b32_e32 v25, 0x1000
	v_fma_f32 v60, v14, v26, -v6
	v_lshl_or_b32 v5, v5, 3, v25
	v_add_u32_e32 v6, 24, v21
	v_mul_f32_e32 v59, v14, v27
	v_mul_lo_u32 v27, v1, v6
	global_load_dwordx2 v[5:6], v5, s[0:1]
	v_mul_f32_e32 v58, v32, v12
	v_fmac_f32_e32 v58, v31, v11
	v_mul_f32_e32 v11, v32, v11
	v_fmac_f32_e32 v59, v13, v26
	v_fma_f32 v61, v31, v12, -v11
	v_lshlrev_b32_sdwa v11, v28, v27 dst_sel:DWORD dst_unused:UNUSED_PAD src0_sel:DWORD src1_sel:BYTE_0
	global_load_dwordx2 v[11:12], v11, s[0:1]
	v_lshlrev_b32_sdwa v13, v28, v27 dst_sel:DWORD dst_unused:UNUSED_PAD src0_sel:DWORD src1_sel:BYTE_1
	global_load_dwordx2 v[13:14], v13, s[0:1] offset:2048
	v_mul_f32_e32 v10, v30, v40
	v_mul_f32_e32 v26, v30, v39
	v_fmac_f32_e32 v10, v29, v39
	v_fma_f32 v62, v29, v40, -v26
	ds_read_b64 v[29:30], v4 offset:16896
	v_bfe_u32 v27, v27, 16, 8
	v_add_u32_e32 v32, 48, v21
	v_lshl_or_b32 v27, v27, 3, v25
	global_load_dwordx2 v[35:36], v27, s[0:1]
	v_mul_lo_u32 v32, v1, v32
	s_waitcnt vmcnt(8)
	v_mul_f32_e32 v26, v50, v45
	v_fma_f32 v31, v49, v46, -v26
	s_waitcnt vmcnt(7)
	v_mul_f32_e32 v63, v48, v52
	v_mul_f32_e32 v26, v47, v52
	v_fmac_f32_e32 v63, v47, v51
	v_fma_f32 v51, v48, v51, -v26
	s_waitcnt vmcnt(6) lgkmcnt(0)
	v_mul_f32_e32 v26, v30, v54
	v_fmac_f32_e32 v26, v29, v53
	v_mul_f32_e32 v27, v29, v54
	v_lshlrev_b32_sdwa v29, v28, v32 dst_sel:DWORD dst_unused:UNUSED_PAD src0_sel:DWORD src1_sel:BYTE_0
	v_fma_f32 v27, v30, v53, -v27
	v_lshlrev_b32_sdwa v30, v28, v32 dst_sel:DWORD dst_unused:UNUSED_PAD src0_sel:DWORD src1_sel:BYTE_1
	global_load_dwordx2 v[39:40], v29, s[0:1]
	global_load_dwordx2 v[41:42], v30, s[0:1] offset:2048
	v_bfe_u32 v29, v32, 16, 8
	v_lshl_or_b32 v29, v29, 3, v25
	v_sub_f32_e32 v48, v38, v43
	global_load_dwordx2 v[43:44], v29, s[0:1]
	v_sub_f32_e32 v47, v37, v57
	v_mul_f32_e32 v4, v50, v46
	v_fma_f32 v29, v37, 2.0, -v47
	v_add_u32_e32 v37, 0x48, v21
	v_fmac_f32_e32 v4, v49, v45
	v_mul_lo_u32 v49, v1, v37
	s_waitcnt vmcnt(7)
	v_mul_f32_e32 v32, v3, v56
	v_fma_f32 v50, v2, v55, -v32
	v_mul_f32_e32 v2, v2, v56
	v_fmac_f32_e32 v2, v3, v55
	v_lshlrev_b32_sdwa v3, v28, v49 dst_sel:DWORD dst_unused:UNUSED_PAD src0_sel:DWORD src1_sel:BYTE_0
	v_fma_f32 v30, v38, 2.0, -v48
	v_lshlrev_b32_sdwa v32, v28, v49 dst_sel:DWORD dst_unused:UNUSED_PAD src0_sel:DWORD src1_sel:BYTE_1
	global_load_dwordx2 v[37:38], v3, s[0:1]
	global_load_dwordx2 v[45:46], v32, s[0:1] offset:2048
	v_sub_f32_e32 v3, v7, v4
	v_fma_f32 v7, v7, 2.0, -v3
	v_sub_f32_e32 v4, v15, v31
	v_sub_f32_e32 v52, v29, v7
	v_fma_f32 v15, v15, 2.0, -v4
	v_fma_f32 v7, v29, 2.0, -v52
	v_sub_f32_e32 v29, v33, v59
	v_sub_f32_e32 v15, v30, v15
	v_fma_f32 v31, v33, 2.0, -v29
	v_fma_f32 v53, v30, 2.0, -v15
	v_sub_f32_e32 v30, v34, v60
	v_fma_f32 v32, v34, 2.0, -v30
	v_sub_f32_e32 v56, v48, v3
	s_waitcnt vmcnt(8)
	v_mul_f32_e32 v33, v2, v6
	v_mul_f32_e32 v6, v50, v6
	v_fmac_f32_e32 v6, v5, v2
	v_fma_f32 v54, v5, v50, -v33
	v_mul_f32_e32 v2, v53, v6
	v_fmac_f32_e32 v2, v7, v54
	v_mul_f32_e32 v5, v7, v6
	v_bfe_u32 v7, v49, 16, 8
	v_lshl_or_b32 v7, v7, 3, v25
	global_load_dwordx2 v[33:34], v7, s[0:1]
	v_mul_lo_u32 v49, v1, v9
	s_waitcnt vmcnt(7)
	v_mul_f32_e32 v6, v12, v14
	v_mul_f32_e32 v7, v11, v14
	v_fma_f32 v6, v11, v13, -v6
	v_lshlrev_b32_sdwa v50, v28, v49 dst_sel:DWORD dst_unused:UNUSED_PAD src0_sel:DWORD src1_sel:BYTE_0
	v_fmac_f32_e32 v7, v12, v13
	v_lshlrev_b32_sdwa v55, v28, v49 dst_sel:DWORD dst_unused:UNUSED_PAD src0_sel:DWORD src1_sel:BYTE_1
	global_load_dwordx2 v[11:12], v50, s[0:1]
	global_load_dwordx2 v[13:14], v55, s[0:1] offset:2048
	v_add_f32_e32 v55, v47, v4
	v_fma_f32 v3, v53, v54, -v5
	s_waitcnt vmcnt(8)
	v_mul_f32_e32 v5, v7, v36
	v_mul_f32_e32 v36, v6, v36
	v_fma_f32 v4, v47, 2.0, -v55
	v_fma_f32 v47, v48, 2.0, -v56
	v_fmac_f32_e32 v36, v35, v7
	v_fma_f32 v5, v35, v6, -v5
	v_mul_f32_e32 v6, v47, v36
	v_fmac_f32_e32 v6, v4, v5
	v_mul_f32_e32 v4, v4, v36
	v_fma_f32 v7, v47, v5, -v4
	v_add_u32_e32 v47, 48, v9
	v_mul_lo_u32 v47, v1, v47
	s_waitcnt vmcnt(6)
	v_mul_f32_e32 v4, v40, v42
	v_mul_f32_e32 v5, v39, v42
	v_fma_f32 v4, v39, v41, -v4
	v_fmac_f32_e32 v5, v40, v41
	s_waitcnt vmcnt(5)
	v_mul_f32_e32 v35, v5, v44
	v_mul_f32_e32 v39, v4, v44
	v_add_u32_e32 v40, 24, v9
	v_fma_f32 v50, v43, v4, -v35
	v_fmac_f32_e32 v39, v43, v5
	v_bfe_u32 v5, v49, 16, 8
	v_mul_lo_u32 v43, v1, v40
	v_lshl_or_b32 v5, v5, 3, v25
	global_load_dwordx2 v[35:36], v5, s[0:1]
	v_mul_f32_e32 v4, v15, v39
	v_lshlrev_b32_sdwa v41, v28, v43 dst_sel:DWORD dst_unused:UNUSED_PAD src0_sel:DWORD src1_sel:BYTE_1
	global_load_dwordx2 v[41:42], v41, s[0:1] offset:2048
	v_mul_f32_e32 v5, v52, v39
	v_lshlrev_b32_sdwa v39, v28, v43 dst_sel:DWORD dst_unused:UNUSED_PAD src0_sel:DWORD src1_sel:BYTE_0
	global_load_dwordx2 v[39:40], v39, s[0:1]
	v_bfe_u32 v43, v43, 16, 8
	v_lshl_or_b32 v43, v43, 3, v25
	global_load_dwordx2 v[43:44], v43, s[0:1]
	v_fma_f32 v5, v15, v50, -v5
	s_waitcnt vmcnt(7)
	v_mul_f32_e32 v15, v38, v46
	v_mul_f32_e32 v53, v37, v46
	v_lshlrev_b32_sdwa v48, v28, v47 dst_sel:DWORD dst_unused:UNUSED_PAD src0_sel:DWORD src1_sel:BYTE_0
	v_fma_f32 v15, v37, v45, -v15
	v_fmac_f32_e32 v53, v38, v45
	v_lshlrev_b32_sdwa v49, v28, v47 dst_sel:DWORD dst_unused:UNUSED_PAD src0_sel:DWORD src1_sel:BYTE_1
	global_load_dwordx2 v[37:38], v48, s[0:1]
	global_load_dwordx2 v[45:46], v49, s[0:1] offset:2048
	v_bfe_u32 v47, v47, 16, 8
	v_lshl_or_b32 v47, v47, 3, v25
	global_load_dwordx2 v[47:48], v47, s[0:1]
	v_fmac_f32_e32 v4, v52, v50
	ds_read_b64 v[49:50], v8
	v_add_u32_e32 v9, 0x48, v9
	s_waitcnt lgkmcnt(0)
	v_sub_f32_e32 v52, v49, v58
	v_sub_f32_e32 v54, v50, v61
	v_fma_f32 v57, v49, 2.0, -v52
	v_fma_f32 v58, v50, 2.0, -v54
	s_waitcnt vmcnt(9)
	v_mul_f32_e32 v8, v53, v34
	v_fma_f32 v59, v33, v15, -v8
	v_mul_f32_e32 v15, v15, v34
	v_fmac_f32_e32 v15, v33, v53
	v_mul_lo_u32 v53, v1, v9
	v_mul_f32_e32 v8, v56, v15
	v_fmac_f32_e32 v8, v55, v59
	v_mul_f32_e32 v15, v55, v15
	s_waitcnt vmcnt(7)
	v_mul_f32_e32 v33, v12, v14
	v_fma_f32 v55, v11, v13, -v33
	v_mul_f32_e32 v11, v11, v14
	v_lshlrev_b32_sdwa v9, v28, v53 dst_sel:DWORD dst_unused:UNUSED_PAD src0_sel:DWORD src1_sel:BYTE_0
	v_fmac_f32_e32 v11, v12, v13
	v_lshlrev_b32_sdwa v12, v28, v53 dst_sel:DWORD dst_unused:UNUSED_PAD src0_sel:DWORD src1_sel:BYTE_1
	global_load_dwordx2 v[33:34], v9, s[0:1]
	global_load_dwordx2 v[49:50], v12, s[0:1] offset:2048
	v_sub_f32_e32 v12, v62, v51
	v_sub_f32_e32 v9, v10, v63
	v_fma_f32 v13, v62, 2.0, -v12
	v_fma_f32 v10, v10, 2.0, -v9
	v_sub_f32_e32 v60, v58, v13
	v_add_f32_e32 v61, v52, v12
	v_sub_f32_e32 v51, v57, v10
	v_fma_f32 v13, v58, 2.0, -v60
	v_fma_f32 v10, v57, 2.0, -v51
	v_sub_f32_e32 v62, v54, v9
	v_fma_f32 v9, v56, v59, -v15
	v_fma_f32 v14, v52, 2.0, -v61
	v_fma_f32 v52, v54, 2.0, -v62
	s_waitcnt vmcnt(8)
	v_mul_f32_e32 v12, v11, v36
	v_mul_f32_e32 v36, v55, v36
	v_fmac_f32_e32 v36, v35, v11
	v_fma_f32 v15, v35, v55, -v12
	v_mul_f32_e32 v12, v13, v36
	v_fmac_f32_e32 v12, v10, v15
	v_mul_f32_e32 v10, v10, v36
	v_fma_f32 v13, v13, v15, -v10
	s_waitcnt vmcnt(6)
	v_mul_f32_e32 v10, v40, v42
	v_fma_f32 v10, v39, v41, -v10
	v_mul_f32_e32 v11, v39, v42
	v_fmac_f32_e32 v11, v40, v41
	s_waitcnt vmcnt(5)
	v_mul_f32_e32 v35, v10, v44
	v_mul_f32_e32 v15, v11, v44
	v_fmac_f32_e32 v35, v43, v11
	v_fma_f32 v15, v43, v10, -v15
	v_mul_f32_e32 v10, v52, v35
	v_fmac_f32_e32 v10, v14, v15
	v_mul_f32_e32 v11, v14, v35
	s_waitcnt vmcnt(3)
	v_mul_f32_e32 v14, v38, v46
	v_fma_f32 v11, v52, v15, -v11
	v_fma_f32 v14, v37, v45, -v14
	v_mul_f32_e32 v15, v37, v46
	v_mul_lo_u32 v37, v1, v22
	v_bfe_u32 v35, v53, 16, 8
	v_fmac_f32_e32 v15, v38, v45
	v_lshl_or_b32 v35, v35, 3, v25
	s_waitcnt vmcnt(2)
	v_mul_f32_e32 v38, v15, v48
	v_lshlrev_b32_sdwa v41, v28, v37 dst_sel:DWORD dst_unused:UNUSED_PAD src0_sel:DWORD src1_sel:BYTE_0
	v_lshlrev_b32_sdwa v42, v28, v37 dst_sel:DWORD dst_unused:UNUSED_PAD src0_sel:DWORD src1_sel:BYTE_1
	global_load_dwordx2 v[35:36], v35, s[0:1]
	v_fma_f32 v52, v47, v14, -v38
	v_bfe_u32 v43, v37, 16, 8
	global_load_dwordx2 v[37:38], v41, s[0:1]
	global_load_dwordx2 v[39:40], v42, s[0:1] offset:2048
	v_add_u32_e32 v42, 24, v22
	v_mul_lo_u32 v45, v1, v42
	v_lshl_or_b32 v41, v43, 3, v25
	v_mul_f32_e32 v53, v14, v48
	global_load_dwordx2 v[41:42], v41, s[0:1]
	v_fmac_f32_e32 v53, v47, v15
	v_lshlrev_b32_sdwa v15, v28, v45 dst_sel:DWORD dst_unused:UNUSED_PAD src0_sel:DWORD src1_sel:BYTE_0
	global_load_dwordx2 v[43:44], v15, s[0:1]
	v_lshlrev_b32_sdwa v15, v28, v45 dst_sel:DWORD dst_unused:UNUSED_PAD src0_sel:DWORD src1_sel:BYTE_1
	v_bfe_u32 v47, v45, 16, 8
	global_load_dwordx2 v[45:46], v15, s[0:1] offset:2048
	v_lshl_or_b32 v15, v47, 3, v25
	v_add_u32_e32 v47, 48, v22
	v_mul_lo_u32 v55, v1, v47
	global_load_dwordx2 v[47:48], v15, s[0:1]
	v_mul_f32_e32 v14, v60, v53
	v_mul_f32_e32 v15, v51, v53
	v_lshlrev_b32_sdwa v56, v28, v55 dst_sel:DWORD dst_unused:UNUSED_PAD src0_sel:DWORD src1_sel:BYTE_0
	v_add_u32_e32 v22, 0x48, v22
	v_fmac_f32_e32 v14, v51, v52
	v_fma_f32 v15, v60, v52, -v15
	v_lshlrev_b32_sdwa v57, v28, v55 dst_sel:DWORD dst_unused:UNUSED_PAD src0_sel:DWORD src1_sel:BYTE_1
	global_load_dwordx2 v[51:52], v56, s[0:1]
	global_load_dwordx2 v[53:54], v57, s[0:1] offset:2048
	v_bfe_u32 v55, v55, 16, 8
	v_mul_lo_u32 v1, v1, v22
	v_lshl_or_b32 v55, v55, 3, v25
	global_load_dwordx2 v[55:56], v55, s[0:1]
	s_waitcnt vmcnt(10)
	v_mul_f32_e32 v22, v34, v50
	v_mul_f32_e32 v59, v33, v50
	v_lshlrev_b32_sdwa v57, v28, v1 dst_sel:DWORD dst_unused:UNUSED_PAD src0_sel:DWORD src1_sel:BYTE_0
	v_fma_f32 v22, v33, v49, -v22
	v_fmac_f32_e32 v59, v34, v49
	v_lshlrev_b32_sdwa v28, v28, v1 dst_sel:DWORD dst_unused:UNUSED_PAD src0_sel:DWORD src1_sel:BYTE_1
	global_load_dwordx2 v[33:34], v57, s[0:1]
	global_load_dwordx2 v[49:50], v28, s[0:1] offset:2048
	v_bfe_u32 v1, v1, 16, 8
	v_lshl_or_b32 v1, v1, 3, v25
	global_load_dwordx2 v[57:58], v1, s[0:1]
	v_sub_f32_e32 v25, v24, v27
	v_sub_f32_e32 v1, v23, v26
	v_fma_f32 v24, v24, 2.0, -v25
	v_fma_f32 v23, v23, 2.0, -v1
	v_sub_f32_e32 v63, v32, v24
	v_sub_f32_e32 v60, v31, v23
	v_fma_f32 v26, v31, 2.0, -v60
	v_add_f32_e32 v31, v29, v25
	v_fma_f32 v27, v32, 2.0, -v63
	v_sub_f32_e32 v1, v30, v1
	v_fma_f32 v28, v29, 2.0, -v31
	v_fma_f32 v29, v30, 2.0, -v1
	s_movk_i32 s0, 0x23f
	v_cmp_lt_u32_e64 s[0:1], s0, v0
	s_waitcnt vmcnt(12)
	v_mul_f32_e32 v24, v22, v36
	v_mul_f32_e32 v23, v59, v36
	v_fmac_f32_e32 v24, v35, v59
	v_fma_f32 v23, v35, v22, -v23
	v_mul_f32_e32 v22, v62, v24
	v_mul_f32_e32 v24, v61, v24
	v_fmac_f32_e32 v22, v61, v23
	v_fma_f32 v23, v62, v23, -v24
	s_waitcnt vmcnt(10)
	v_mul_f32_e32 v24, v38, v40
	v_fma_f32 v24, v37, v39, -v24
	v_mul_f32_e32 v25, v37, v40
	v_fmac_f32_e32 v25, v38, v39
	s_waitcnt vmcnt(9)
	v_mul_f32_e32 v32, v24, v42
	v_mul_f32_e32 v30, v25, v42
	v_fmac_f32_e32 v32, v41, v25
	v_fma_f32 v30, v41, v24, -v30
	v_mul_f32_e32 v24, v27, v32
	v_fmac_f32_e32 v24, v26, v30
	v_mul_f32_e32 v25, v26, v32
	s_waitcnt vmcnt(7)
	v_mul_f32_e32 v26, v44, v46
	v_fma_f32 v25, v27, v30, -v25
	v_fma_f32 v26, v43, v45, -v26
	v_mul_f32_e32 v27, v43, v46
	v_fmac_f32_e32 v27, v44, v45
	s_waitcnt vmcnt(6)
	v_mul_f32_e32 v32, v26, v48
	v_mul_f32_e32 v30, v27, v48
	v_fmac_f32_e32 v32, v47, v27
	v_fma_f32 v30, v47, v26, -v30
	v_mul_f32_e32 v26, v29, v32
	v_fmac_f32_e32 v26, v28, v30
	v_mul_f32_e32 v27, v28, v32
	s_waitcnt vmcnt(4)
	v_mul_f32_e32 v28, v52, v54
	v_fma_f32 v27, v29, v30, -v27
	v_fma_f32 v28, v51, v53, -v28
	v_mul_f32_e32 v29, v51, v54
	v_fmac_f32_e32 v29, v52, v53
	s_waitcnt vmcnt(3)
	v_mul_f32_e32 v32, v28, v56
	v_mul_f32_e32 v30, v29, v56
	v_fmac_f32_e32 v32, v55, v29
	v_fma_f32 v30, v55, v28, -v30
	v_mul_f32_e32 v28, v63, v32
	v_mul_f32_e32 v29, v60, v32
	v_fmac_f32_e32 v28, v60, v30
	v_fma_f32 v29, v63, v30, -v29
	s_waitcnt vmcnt(1)
	v_mul_f32_e32 v30, v34, v50
	v_fma_f32 v30, v33, v49, -v30
	v_mul_f32_e32 v32, v33, v50
	v_fmac_f32_e32 v32, v34, v49
	s_waitcnt vmcnt(0)
	v_mul_f32_e32 v34, v30, v58
	v_mul_f32_e32 v33, v32, v58
	v_fmac_f32_e32 v34, v57, v32
	v_mov_b32_e32 v32, 0x60
	v_cndmask_b32_e64 v0, 0, v32, s[0:1]
	v_or_b32_e32 v0, v21, v0
	v_mul_lo_u32 v21, s12, v0
	v_fma_f32 v33, v57, v30, -v33
	v_mul_f32_e32 v30, v1, v34
	v_fmac_f32_e32 v30, v31, v33
	v_mul_f32_e32 v31, v31, v34
	v_fma_f32 v31, v1, v33, -v31
	v_add_u32_e32 v1, 24, v0
	v_add_lshl_u32 v21, v16, v21, 3
	v_mul_lo_u32 v1, s12, v1
	v_cndmask_b32_e32 v21, -1, v21, vcc
	buffer_store_dwordx2 v[2:3], v21, s[8:11], s2 offen
	v_add_u32_e32 v2, 48, v0
	v_mul_lo_u32 v2, s12, v2
	v_add_u32_e32 v0, 0x48, v0
	v_mul_lo_u32 v0, s12, v0
	v_add_lshl_u32 v1, v16, v1, 3
	v_cndmask_b32_e32 v1, -1, v1, vcc
	buffer_store_dwordx2 v[6:7], v1, s[8:11], s2 offen
	v_add_lshl_u32 v1, v16, v2, 3
	v_cndmask_b32_e32 v1, -1, v1, vcc
	v_add_lshl_u32 v0, v16, v0, 3
	buffer_store_dwordx2 v[4:5], v1, s[8:11], s2 offen
	v_cndmask_b32_e32 v0, -1, v0, vcc
	v_mad_u32_u24 v1, v20, s3, v18
	v_mul_lo_u32 v2, s12, v1
	buffer_store_dwordx2 v[8:9], v0, s[8:11], s2 offen
	v_add_u32_e32 v0, 24, v1
	v_mul_lo_u32 v0, s12, v0
	v_add_lshl_u32 v2, v16, v2, 3
	v_cndmask_b32_e32 v2, -1, v2, vcc
	buffer_store_dwordx2 v[12:13], v2, s[8:11], s2 offen
	v_add_lshl_u32 v0, v16, v0, 3
	v_cndmask_b32_e32 v0, -1, v0, vcc
	v_add_u32_e32 v2, 48, v1
	v_mul_lo_u32 v2, s12, v2
	buffer_store_dwordx2 v[10:11], v0, s[8:11], s2 offen
	v_add_u32_e32 v0, 0x48, v1
	v_mul_lo_u32 v0, s12, v0
	v_add_lshl_u32 v1, v16, v2, 3
	v_cndmask_b32_e32 v1, -1, v1, vcc
	buffer_store_dwordx2 v[14:15], v1, s[8:11], s2 offen
	v_add_lshl_u32 v0, v16, v0, 3
	v_cndmask_b32_e32 v0, -1, v0, vcc
	v_mad_u32_u24 v1, v19, s3, v17
	buffer_store_dwordx2 v[22:23], v0, s[8:11], s2 offen
	v_add_u32_e32 v0, 24, v1
	v_mul_lo_u32 v2, s12, v1
	v_mul_lo_u32 v0, s12, v0
	v_add_lshl_u32 v2, v16, v2, 3
	v_add_lshl_u32 v0, v16, v0, 3
	v_cndmask_b32_e32 v2, -1, v2, vcc
	v_cndmask_b32_e32 v0, -1, v0, vcc
	buffer_store_dwordx2 v[24:25], v2, s[8:11], s2 offen
	v_add_u32_e32 v2, 48, v1
	buffer_store_dwordx2 v[26:27], v0, s[8:11], s2 offen
	v_add_u32_e32 v0, 0x48, v1
	v_mul_lo_u32 v2, s12, v2
	v_mul_lo_u32 v0, s12, v0
	v_add_lshl_u32 v1, v16, v2, 3
	v_add_lshl_u32 v0, v16, v0, 3
	v_cndmask_b32_e32 v1, -1, v1, vcc
	v_cndmask_b32_e32 v0, -1, v0, vcc
	buffer_store_dwordx2 v[28:29], v1, s[8:11], s2 offen
	buffer_store_dwordx2 v[30:31], v0, s[8:11], s2 offen
	s_endpgm
	.section	.rodata,"a",@progbits
	.p2align	6, 0x0
	.amdhsa_kernel fft_rtc_back_len96_factors_4_2_3_4_wgs_192_tpt_8_dim2_sp_ip_CI_sbcc_twdbase8_3step_dirReg_intrinsicReadWrite
		.amdhsa_group_segment_fixed_size 0
		.amdhsa_private_segment_fixed_size 0
		.amdhsa_kernarg_size 88
		.amdhsa_user_sgpr_count 6
		.amdhsa_user_sgpr_private_segment_buffer 1
		.amdhsa_user_sgpr_dispatch_ptr 0
		.amdhsa_user_sgpr_queue_ptr 0
		.amdhsa_user_sgpr_kernarg_segment_ptr 1
		.amdhsa_user_sgpr_dispatch_id 0
		.amdhsa_user_sgpr_flat_scratch_init 0
		.amdhsa_user_sgpr_private_segment_size 0
		.amdhsa_uses_dynamic_stack 0
		.amdhsa_system_sgpr_private_segment_wavefront_offset 0
		.amdhsa_system_sgpr_workgroup_id_x 1
		.amdhsa_system_sgpr_workgroup_id_y 0
		.amdhsa_system_sgpr_workgroup_id_z 0
		.amdhsa_system_sgpr_workgroup_info 0
		.amdhsa_system_vgpr_workitem_id 0
		.amdhsa_next_free_vgpr 64
		.amdhsa_next_free_sgpr 23
		.amdhsa_reserve_vcc 1
		.amdhsa_reserve_flat_scratch 0
		.amdhsa_float_round_mode_32 0
		.amdhsa_float_round_mode_16_64 0
		.amdhsa_float_denorm_mode_32 3
		.amdhsa_float_denorm_mode_16_64 3
		.amdhsa_dx10_clamp 1
		.amdhsa_ieee_mode 1
		.amdhsa_fp16_overflow 0
		.amdhsa_exception_fp_ieee_invalid_op 0
		.amdhsa_exception_fp_denorm_src 0
		.amdhsa_exception_fp_ieee_div_zero 0
		.amdhsa_exception_fp_ieee_overflow 0
		.amdhsa_exception_fp_ieee_underflow 0
		.amdhsa_exception_fp_ieee_inexact 0
		.amdhsa_exception_int_div_zero 0
	.end_amdhsa_kernel
	.text
.Lfunc_end0:
	.size	fft_rtc_back_len96_factors_4_2_3_4_wgs_192_tpt_8_dim2_sp_ip_CI_sbcc_twdbase8_3step_dirReg_intrinsicReadWrite, .Lfunc_end0-fft_rtc_back_len96_factors_4_2_3_4_wgs_192_tpt_8_dim2_sp_ip_CI_sbcc_twdbase8_3step_dirReg_intrinsicReadWrite
                                        ; -- End function
	.section	.AMDGPU.csdata,"",@progbits
; Kernel info:
; codeLenInByte = 5736
; NumSgprs: 27
; NumVgprs: 64
; ScratchSize: 0
; MemoryBound: 0
; FloatMode: 240
; IeeeMode: 1
; LDSByteSize: 0 bytes/workgroup (compile time only)
; SGPRBlocks: 3
; VGPRBlocks: 15
; NumSGPRsForWavesPerEU: 27
; NumVGPRsForWavesPerEU: 64
; Occupancy: 4
; WaveLimiterHint : 0
; COMPUTE_PGM_RSRC2:SCRATCH_EN: 0
; COMPUTE_PGM_RSRC2:USER_SGPR: 6
; COMPUTE_PGM_RSRC2:TRAP_HANDLER: 0
; COMPUTE_PGM_RSRC2:TGID_X_EN: 1
; COMPUTE_PGM_RSRC2:TGID_Y_EN: 0
; COMPUTE_PGM_RSRC2:TGID_Z_EN: 0
; COMPUTE_PGM_RSRC2:TIDIG_COMP_CNT: 0
	.type	__hip_cuid_2bf9c65292996c28,@object ; @__hip_cuid_2bf9c65292996c28
	.section	.bss,"aw",@nobits
	.globl	__hip_cuid_2bf9c65292996c28
__hip_cuid_2bf9c65292996c28:
	.byte	0                               ; 0x0
	.size	__hip_cuid_2bf9c65292996c28, 1

	.ident	"AMD clang version 19.0.0git (https://github.com/RadeonOpenCompute/llvm-project roc-6.4.0 25133 c7fe45cf4b819c5991fe208aaa96edf142730f1d)"
	.section	".note.GNU-stack","",@progbits
	.addrsig
	.addrsig_sym __hip_cuid_2bf9c65292996c28
	.amdgpu_metadata
---
amdhsa.kernels:
  - .args:
      - .actual_access:  read_only
        .address_space:  global
        .offset:         0
        .size:           8
        .value_kind:     global_buffer
      - .address_space:  global
        .offset:         8
        .size:           8
        .value_kind:     global_buffer
      - .actual_access:  read_only
        .address_space:  global
        .offset:         16
        .size:           8
        .value_kind:     global_buffer
      - .actual_access:  read_only
        .address_space:  global
        .offset:         24
        .size:           8
        .value_kind:     global_buffer
      - .offset:         32
        .size:           8
        .value_kind:     by_value
      - .actual_access:  read_only
        .address_space:  global
        .offset:         40
        .size:           8
        .value_kind:     global_buffer
      - .actual_access:  read_only
        .address_space:  global
        .offset:         48
        .size:           8
        .value_kind:     global_buffer
      - .offset:         56
        .size:           4
        .value_kind:     by_value
      - .actual_access:  read_only
        .address_space:  global
        .offset:         64
        .size:           8
        .value_kind:     global_buffer
      - .actual_access:  read_only
        .address_space:  global
        .offset:         72
        .size:           8
        .value_kind:     global_buffer
      - .address_space:  global
        .offset:         80
        .size:           8
        .value_kind:     global_buffer
    .group_segment_fixed_size: 0
    .kernarg_segment_align: 8
    .kernarg_segment_size: 88
    .language:       OpenCL C
    .language_version:
      - 2
      - 0
    .max_flat_workgroup_size: 192
    .name:           fft_rtc_back_len96_factors_4_2_3_4_wgs_192_tpt_8_dim2_sp_ip_CI_sbcc_twdbase8_3step_dirReg_intrinsicReadWrite
    .private_segment_fixed_size: 0
    .sgpr_count:     27
    .sgpr_spill_count: 0
    .symbol:         fft_rtc_back_len96_factors_4_2_3_4_wgs_192_tpt_8_dim2_sp_ip_CI_sbcc_twdbase8_3step_dirReg_intrinsicReadWrite.kd
    .uniform_work_group_size: 1
    .uses_dynamic_stack: false
    .vgpr_count:     64
    .vgpr_spill_count: 0
    .wavefront_size: 64
amdhsa.target:   amdgcn-amd-amdhsa--gfx906
amdhsa.version:
  - 1
  - 2
...

	.end_amdgpu_metadata
